;; amdgpu-corpus repo=ROCm/rocFFT kind=compiled arch=gfx1201 opt=O3
	.text
	.amdgcn_target "amdgcn-amd-amdhsa--gfx1201"
	.amdhsa_code_object_version 6
	.protected	fft_rtc_fwd_len1485_factors_3_5_11_3_3_wgs_165_tpt_165_dp_op_CI_CI_sbrr_dirReg ; -- Begin function fft_rtc_fwd_len1485_factors_3_5_11_3_3_wgs_165_tpt_165_dp_op_CI_CI_sbrr_dirReg
	.globl	fft_rtc_fwd_len1485_factors_3_5_11_3_3_wgs_165_tpt_165_dp_op_CI_CI_sbrr_dirReg
	.p2align	8
	.type	fft_rtc_fwd_len1485_factors_3_5_11_3_3_wgs_165_tpt_165_dp_op_CI_CI_sbrr_dirReg,@function
fft_rtc_fwd_len1485_factors_3_5_11_3_3_wgs_165_tpt_165_dp_op_CI_CI_sbrr_dirReg: ; @fft_rtc_fwd_len1485_factors_3_5_11_3_3_wgs_165_tpt_165_dp_op_CI_CI_sbrr_dirReg
; %bb.0:
	s_clause 0x2
	s_load_b128 s[12:15], s[0:1], 0x18
	s_load_b128 s[8:11], s[0:1], 0x0
	;; [unrolled: 1-line block ×3, first 2 shown]
	v_mul_u32_u24_e32 v1, 0x18e, v0
	v_mov_b32_e32 v4, 0
	v_mov_b32_e32 v5, 0
	s_wait_kmcnt 0x0
	s_load_b64 s[18:19], s[12:13], 0x0
	s_load_b64 s[16:17], s[14:15], 0x0
	v_lshrrev_b32_e32 v2, 16, v1
	v_mov_b32_e32 v1, 0
	v_cmp_lt_u64_e64 s2, s[10:11], 2
	s_delay_alu instid0(VALU_DEP_2) | instskip(NEXT) | instid1(VALU_DEP_2)
	v_dual_mov_b32 v7, v1 :: v_dual_add_nc_u32 v6, ttmp9, v2
	s_and_b32 vcc_lo, exec_lo, s2
	s_cbranch_vccnz .LBB0_8
; %bb.1:
	s_load_b64 s[2:3], s[0:1], 0x10
	v_mov_b32_e32 v4, 0
	v_mov_b32_e32 v5, 0
	s_add_nc_u64 s[20:21], s[14:15], 8
	s_add_nc_u64 s[22:23], s[12:13], 8
	s_mov_b64 s[24:25], 1
	s_delay_alu instid0(VALU_DEP_1)
	v_dual_mov_b32 v81, v5 :: v_dual_mov_b32 v80, v4
	s_wait_kmcnt 0x0
	s_add_nc_u64 s[26:27], s[2:3], 8
	s_mov_b32 s3, 0
.LBB0_2:                                ; =>This Inner Loop Header: Depth=1
	s_load_b64 s[28:29], s[26:27], 0x0
                                        ; implicit-def: $vgpr82_vgpr83
	s_mov_b32 s2, exec_lo
	s_wait_kmcnt 0x0
	v_or_b32_e32 v2, s29, v7
	s_delay_alu instid0(VALU_DEP_1)
	v_cmpx_ne_u64_e32 0, v[1:2]
	s_wait_alu 0xfffe
	s_xor_b32 s30, exec_lo, s2
	s_cbranch_execz .LBB0_4
; %bb.3:                                ;   in Loop: Header=BB0_2 Depth=1
	s_cvt_f32_u32 s2, s28
	s_cvt_f32_u32 s31, s29
	s_sub_nc_u64 s[36:37], 0, s[28:29]
	s_wait_alu 0xfffe
	s_delay_alu instid0(SALU_CYCLE_1) | instskip(SKIP_1) | instid1(SALU_CYCLE_2)
	s_fmamk_f32 s2, s31, 0x4f800000, s2
	s_wait_alu 0xfffe
	v_s_rcp_f32 s2, s2
	s_delay_alu instid0(TRANS32_DEP_1) | instskip(SKIP_1) | instid1(SALU_CYCLE_2)
	s_mul_f32 s2, s2, 0x5f7ffffc
	s_wait_alu 0xfffe
	s_mul_f32 s31, s2, 0x2f800000
	s_wait_alu 0xfffe
	s_delay_alu instid0(SALU_CYCLE_2) | instskip(SKIP_1) | instid1(SALU_CYCLE_2)
	s_trunc_f32 s31, s31
	s_wait_alu 0xfffe
	s_fmamk_f32 s2, s31, 0xcf800000, s2
	s_cvt_u32_f32 s35, s31
	s_wait_alu 0xfffe
	s_delay_alu instid0(SALU_CYCLE_1) | instskip(SKIP_1) | instid1(SALU_CYCLE_2)
	s_cvt_u32_f32 s34, s2
	s_wait_alu 0xfffe
	s_mul_u64 s[38:39], s[36:37], s[34:35]
	s_wait_alu 0xfffe
	s_mul_hi_u32 s41, s34, s39
	s_mul_i32 s40, s34, s39
	s_mul_hi_u32 s2, s34, s38
	s_mul_i32 s33, s35, s38
	s_wait_alu 0xfffe
	s_add_nc_u64 s[40:41], s[2:3], s[40:41]
	s_mul_hi_u32 s31, s35, s38
	s_mul_hi_u32 s42, s35, s39
	s_add_co_u32 s2, s40, s33
	s_wait_alu 0xfffe
	s_add_co_ci_u32 s2, s41, s31
	s_mul_i32 s38, s35, s39
	s_add_co_ci_u32 s39, s42, 0
	s_wait_alu 0xfffe
	s_add_nc_u64 s[38:39], s[2:3], s[38:39]
	s_wait_alu 0xfffe
	v_add_co_u32 v2, s2, s34, s38
	s_delay_alu instid0(VALU_DEP_1) | instskip(SKIP_1) | instid1(VALU_DEP_1)
	s_cmp_lg_u32 s2, 0
	s_add_co_ci_u32 s35, s35, s39
	v_readfirstlane_b32 s34, v2
	s_wait_alu 0xfffe
	s_delay_alu instid0(VALU_DEP_1)
	s_mul_u64 s[36:37], s[36:37], s[34:35]
	s_wait_alu 0xfffe
	s_mul_hi_u32 s39, s34, s37
	s_mul_i32 s38, s34, s37
	s_mul_hi_u32 s2, s34, s36
	s_mul_i32 s33, s35, s36
	s_wait_alu 0xfffe
	s_add_nc_u64 s[38:39], s[2:3], s[38:39]
	s_mul_hi_u32 s31, s35, s36
	s_mul_hi_u32 s34, s35, s37
	s_wait_alu 0xfffe
	s_add_co_u32 s2, s38, s33
	s_add_co_ci_u32 s2, s39, s31
	s_mul_i32 s36, s35, s37
	s_add_co_ci_u32 s37, s34, 0
	s_wait_alu 0xfffe
	s_add_nc_u64 s[36:37], s[2:3], s[36:37]
	s_wait_alu 0xfffe
	v_add_co_u32 v8, s2, v2, s36
	s_delay_alu instid0(VALU_DEP_1) | instskip(SKIP_1) | instid1(VALU_DEP_1)
	s_cmp_lg_u32 s2, 0
	s_add_co_ci_u32 s2, s35, s37
	v_mul_hi_u32 v12, v6, v8
	s_wait_alu 0xfffe
	v_mad_co_u64_u32 v[2:3], null, v6, s2, 0
	v_mad_co_u64_u32 v[8:9], null, v7, v8, 0
	;; [unrolled: 1-line block ×3, first 2 shown]
	s_delay_alu instid0(VALU_DEP_3) | instskip(SKIP_1) | instid1(VALU_DEP_4)
	v_add_co_u32 v2, vcc_lo, v12, v2
	s_wait_alu 0xfffd
	v_add_co_ci_u32_e32 v3, vcc_lo, 0, v3, vcc_lo
	s_delay_alu instid0(VALU_DEP_2) | instskip(SKIP_1) | instid1(VALU_DEP_2)
	v_add_co_u32 v2, vcc_lo, v2, v8
	s_wait_alu 0xfffd
	v_add_co_ci_u32_e32 v2, vcc_lo, v3, v9, vcc_lo
	s_wait_alu 0xfffd
	v_add_co_ci_u32_e32 v3, vcc_lo, 0, v11, vcc_lo
	s_delay_alu instid0(VALU_DEP_2) | instskip(SKIP_1) | instid1(VALU_DEP_2)
	v_add_co_u32 v8, vcc_lo, v2, v10
	s_wait_alu 0xfffd
	v_add_co_ci_u32_e32 v9, vcc_lo, 0, v3, vcc_lo
	s_delay_alu instid0(VALU_DEP_2) | instskip(SKIP_1) | instid1(VALU_DEP_3)
	v_mul_lo_u32 v10, s29, v8
	v_mad_co_u64_u32 v[2:3], null, s28, v8, 0
	v_mul_lo_u32 v11, s28, v9
	s_delay_alu instid0(VALU_DEP_2) | instskip(NEXT) | instid1(VALU_DEP_2)
	v_sub_co_u32 v2, vcc_lo, v6, v2
	v_add3_u32 v3, v3, v11, v10
	s_delay_alu instid0(VALU_DEP_1) | instskip(SKIP_1) | instid1(VALU_DEP_1)
	v_sub_nc_u32_e32 v10, v7, v3
	s_wait_alu 0xfffd
	v_subrev_co_ci_u32_e64 v10, s2, s29, v10, vcc_lo
	v_add_co_u32 v11, s2, v8, 2
	s_wait_alu 0xf1ff
	v_add_co_ci_u32_e64 v12, s2, 0, v9, s2
	v_sub_co_u32 v13, s2, v2, s28
	v_sub_co_ci_u32_e32 v3, vcc_lo, v7, v3, vcc_lo
	s_wait_alu 0xf1ff
	v_subrev_co_ci_u32_e64 v10, s2, 0, v10, s2
	s_delay_alu instid0(VALU_DEP_3) | instskip(NEXT) | instid1(VALU_DEP_3)
	v_cmp_le_u32_e32 vcc_lo, s28, v13
	v_cmp_eq_u32_e64 s2, s29, v3
	s_wait_alu 0xfffd
	v_cndmask_b32_e64 v13, 0, -1, vcc_lo
	v_cmp_le_u32_e32 vcc_lo, s29, v10
	s_wait_alu 0xfffd
	v_cndmask_b32_e64 v14, 0, -1, vcc_lo
	v_cmp_le_u32_e32 vcc_lo, s28, v2
	;; [unrolled: 3-line block ×3, first 2 shown]
	s_wait_alu 0xfffd
	v_cndmask_b32_e64 v15, 0, -1, vcc_lo
	v_cmp_eq_u32_e32 vcc_lo, s29, v10
	s_wait_alu 0xf1ff
	s_delay_alu instid0(VALU_DEP_2)
	v_cndmask_b32_e64 v2, v15, v2, s2
	s_wait_alu 0xfffd
	v_cndmask_b32_e32 v10, v14, v13, vcc_lo
	v_add_co_u32 v13, vcc_lo, v8, 1
	s_wait_alu 0xfffd
	v_add_co_ci_u32_e32 v14, vcc_lo, 0, v9, vcc_lo
	s_delay_alu instid0(VALU_DEP_3) | instskip(SKIP_1) | instid1(VALU_DEP_2)
	v_cmp_ne_u32_e32 vcc_lo, 0, v10
	s_wait_alu 0xfffd
	v_dual_cndmask_b32 v3, v14, v12 :: v_dual_cndmask_b32 v10, v13, v11
	v_cmp_ne_u32_e32 vcc_lo, 0, v2
	s_wait_alu 0xfffd
	s_delay_alu instid0(VALU_DEP_2)
	v_dual_cndmask_b32 v83, v9, v3 :: v_dual_cndmask_b32 v82, v8, v10
.LBB0_4:                                ;   in Loop: Header=BB0_2 Depth=1
	s_wait_alu 0xfffe
	s_and_not1_saveexec_b32 s2, s30
	s_cbranch_execz .LBB0_6
; %bb.5:                                ;   in Loop: Header=BB0_2 Depth=1
	v_cvt_f32_u32_e32 v2, s28
	s_sub_co_i32 s30, 0, s28
	v_mov_b32_e32 v83, v1
	s_delay_alu instid0(VALU_DEP_2) | instskip(NEXT) | instid1(TRANS32_DEP_1)
	v_rcp_iflag_f32_e32 v2, v2
	v_mul_f32_e32 v2, 0x4f7ffffe, v2
	s_delay_alu instid0(VALU_DEP_1) | instskip(SKIP_1) | instid1(VALU_DEP_1)
	v_cvt_u32_f32_e32 v2, v2
	s_wait_alu 0xfffe
	v_mul_lo_u32 v3, s30, v2
	s_delay_alu instid0(VALU_DEP_1) | instskip(NEXT) | instid1(VALU_DEP_1)
	v_mul_hi_u32 v3, v2, v3
	v_add_nc_u32_e32 v2, v2, v3
	s_delay_alu instid0(VALU_DEP_1) | instskip(NEXT) | instid1(VALU_DEP_1)
	v_mul_hi_u32 v2, v6, v2
	v_mul_lo_u32 v3, v2, s28
	v_add_nc_u32_e32 v8, 1, v2
	s_delay_alu instid0(VALU_DEP_2) | instskip(NEXT) | instid1(VALU_DEP_1)
	v_sub_nc_u32_e32 v3, v6, v3
	v_subrev_nc_u32_e32 v9, s28, v3
	v_cmp_le_u32_e32 vcc_lo, s28, v3
	s_wait_alu 0xfffd
	s_delay_alu instid0(VALU_DEP_2) | instskip(NEXT) | instid1(VALU_DEP_1)
	v_dual_cndmask_b32 v3, v3, v9 :: v_dual_cndmask_b32 v2, v2, v8
	v_cmp_le_u32_e32 vcc_lo, s28, v3
	s_delay_alu instid0(VALU_DEP_2) | instskip(SKIP_1) | instid1(VALU_DEP_1)
	v_add_nc_u32_e32 v8, 1, v2
	s_wait_alu 0xfffd
	v_cndmask_b32_e32 v82, v2, v8, vcc_lo
.LBB0_6:                                ;   in Loop: Header=BB0_2 Depth=1
	s_wait_alu 0xfffe
	s_or_b32 exec_lo, exec_lo, s2
	v_mul_lo_u32 v8, v83, s28
	s_delay_alu instid0(VALU_DEP_2)
	v_mul_lo_u32 v9, v82, s29
	s_load_b64 s[30:31], s[22:23], 0x0
	v_mad_co_u64_u32 v[2:3], null, v82, s28, 0
	s_load_b64 s[28:29], s[20:21], 0x0
	s_add_nc_u64 s[24:25], s[24:25], 1
	s_add_nc_u64 s[20:21], s[20:21], 8
	s_wait_alu 0xfffe
	v_cmp_ge_u64_e64 s2, s[24:25], s[10:11]
	s_add_nc_u64 s[22:23], s[22:23], 8
	s_add_nc_u64 s[26:27], s[26:27], 8
	v_add3_u32 v3, v3, v9, v8
	v_sub_co_u32 v2, vcc_lo, v6, v2
	s_wait_alu 0xfffd
	s_delay_alu instid0(VALU_DEP_2) | instskip(SKIP_2) | instid1(VALU_DEP_1)
	v_sub_co_ci_u32_e32 v3, vcc_lo, v7, v3, vcc_lo
	s_and_b32 vcc_lo, exec_lo, s2
	s_wait_kmcnt 0x0
	v_mul_lo_u32 v6, s30, v3
	v_mul_lo_u32 v7, s31, v2
	v_mad_co_u64_u32 v[4:5], null, s30, v2, v[4:5]
	v_mul_lo_u32 v3, s28, v3
	v_mul_lo_u32 v8, s29, v2
	v_mad_co_u64_u32 v[80:81], null, s28, v2, v[80:81]
	s_delay_alu instid0(VALU_DEP_4) | instskip(NEXT) | instid1(VALU_DEP_2)
	v_add3_u32 v5, v7, v5, v6
	v_add3_u32 v81, v8, v81, v3
	s_wait_alu 0xfffe
	s_cbranch_vccnz .LBB0_9
; %bb.7:                                ;   in Loop: Header=BB0_2 Depth=1
	v_dual_mov_b32 v6, v82 :: v_dual_mov_b32 v7, v83
	s_branch .LBB0_2
.LBB0_8:
	v_dual_mov_b32 v81, v5 :: v_dual_mov_b32 v80, v4
	s_delay_alu instid0(VALU_DEP_2)
	v_dual_mov_b32 v83, v7 :: v_dual_mov_b32 v82, v6
.LBB0_9:
	s_load_b64 s[0:1], s[0:1], 0x28
	v_mul_hi_u32 v1, 0x18d3019, v0
	s_lshl_b64 s[10:11], s[10:11], 3
                                        ; implicit-def: $vgpr84
                                        ; implicit-def: $vgpr85
                                        ; implicit-def: $vgpr86
	s_wait_kmcnt 0x0
	v_cmp_gt_u64_e32 vcc_lo, s[0:1], v[82:83]
	v_cmp_le_u64_e64 s0, s[0:1], v[82:83]
	s_delay_alu instid0(VALU_DEP_1)
	s_and_saveexec_b32 s1, s0
	s_wait_alu 0xfffe
	s_xor_b32 s0, exec_lo, s1
; %bb.10:
	v_mul_u32_u24_e32 v1, 0xa5, v1
                                        ; implicit-def: $vgpr4_vgpr5
	s_delay_alu instid0(VALU_DEP_1) | instskip(NEXT) | instid1(VALU_DEP_1)
	v_sub_nc_u32_e32 v84, v0, v1
                                        ; implicit-def: $vgpr1
                                        ; implicit-def: $vgpr0
	v_add_nc_u32_e32 v85, 0xa5, v84
	v_add_nc_u32_e32 v86, 0x14a, v84
; %bb.11:
	s_wait_alu 0xfffe
	s_or_saveexec_b32 s1, s0
	s_add_nc_u64 s[2:3], s[14:15], s[10:11]
                                        ; implicit-def: $vgpr22_vgpr23
                                        ; implicit-def: $vgpr30_vgpr31
                                        ; implicit-def: $vgpr26_vgpr27
                                        ; implicit-def: $vgpr18_vgpr19
                                        ; implicit-def: $vgpr34_vgpr35
                                        ; implicit-def: $vgpr14_vgpr15
                                        ; implicit-def: $vgpr10_vgpr11
                                        ; implicit-def: $vgpr6_vgpr7
                                        ; implicit-def: $vgpr2_vgpr3
	s_wait_alu 0xfffe
	s_xor_b32 exec_lo, exec_lo, s1
	s_cbranch_execz .LBB0_13
; %bb.12:
	s_add_nc_u64 s[10:11], s[12:13], s[10:11]
	v_mul_u32_u24_e32 v1, 0xa5, v1
	s_load_b64 s[10:11], s[10:11], 0x0
	v_lshlrev_b64_e32 v[4:5], 4, v[4:5]
	s_delay_alu instid0(VALU_DEP_2) | instskip(NEXT) | instid1(VALU_DEP_1)
	v_sub_nc_u32_e32 v84, v0, v1
	v_add_nc_u32_e32 v18, 0x294, v84
	v_add_nc_u32_e32 v14, 0x1ef, v84
	v_mad_co_u64_u32 v[0:1], null, s18, v84, 0
	v_add_nc_u32_e32 v85, 0xa5, v84
	v_add_nc_u32_e32 v31, 0x528, v84
	s_delay_alu instid0(VALU_DEP_4) | instskip(SKIP_1) | instid1(VALU_DEP_4)
	v_mad_co_u64_u32 v[2:3], null, s18, v14, 0
	v_add_nc_u32_e32 v30, 0x339, v84
	v_mad_co_u64_u32 v[8:9], null, s18, v85, 0
	s_wait_kmcnt 0x0
	v_mul_lo_u32 v16, s11, v82
	v_mul_lo_u32 v17, s10, v83
	v_mad_co_u64_u32 v[10:11], null, s10, v82, 0
	v_mad_co_u64_u32 v[12:13], null, s19, v84, v[1:2]
	v_mov_b32_e32 v1, v3
	v_mad_co_u64_u32 v[22:23], null, s18, v30, 0
	v_add_nc_u32_e32 v86, 0x14a, v84
	v_add3_u32 v11, v11, v17, v16
	v_mad_co_u64_u32 v[16:17], null, s18, v18, 0
	v_add_nc_u32_e32 v15, 0x3de, v84
	v_mad_co_u64_u32 v[13:14], null, s19, v14, v[1:2]
	v_mov_b32_e32 v1, v12
	v_mad_co_u64_u32 v[20:21], null, s18, v86, 0
	s_delay_alu instid0(VALU_DEP_4) | instskip(NEXT) | instid1(VALU_DEP_3)
	v_mad_co_u64_u32 v[6:7], null, s18, v15, 0
	v_lshlrev_b64_e32 v[0:1], 4, v[0:1]
	s_delay_alu instid0(VALU_DEP_2) | instskip(SKIP_2) | instid1(VALU_DEP_3)
	v_mov_b32_e32 v3, v7
	v_mov_b32_e32 v7, v9
	v_lshlrev_b64_e32 v[9:10], 4, v[10:11]
	v_mad_co_u64_u32 v[14:15], null, s19, v15, v[3:4]
	v_mov_b32_e32 v3, v13
	s_delay_alu instid0(VALU_DEP_3) | instskip(SKIP_1) | instid1(VALU_DEP_4)
	v_add_co_u32 v9, s0, s4, v9
	s_wait_alu 0xf1ff
	v_add_co_ci_u32_e64 v10, s0, s5, v10, s0
	v_mad_co_u64_u32 v[11:12], null, s19, v85, v[7:8]
	v_mov_b32_e32 v7, v14
	v_add_co_u32 v28, s0, v9, v4
	s_wait_alu 0xf1ff
	v_add_co_ci_u32_e64 v29, s0, v10, v5, s0
	v_lshlrev_b64_e32 v[2:3], 4, v[2:3]
	s_delay_alu instid0(VALU_DEP_3) | instskip(SKIP_3) | instid1(VALU_DEP_4)
	v_add_co_u32 v0, s0, v28, v0
	v_lshlrev_b64_e32 v[12:13], 4, v[6:7]
	s_wait_alu 0xf1ff
	v_add_co_ci_u32_e64 v1, s0, v29, v1, s0
	v_add_co_u32 v4, s0, v28, v2
	s_wait_alu 0xf1ff
	v_add_co_ci_u32_e64 v5, s0, v29, v3, s0
	v_mov_b32_e32 v9, v11
	v_add_co_u32 v10, s0, v28, v12
	v_dual_mov_b32 v12, v17 :: v_dual_add_nc_u32 v15, 0x483, v84
	s_wait_alu 0xf1ff
	v_add_co_ci_u32_e64 v11, s0, v29, v13, s0
	v_lshlrev_b64_e32 v[8:9], 4, v[8:9]
	s_delay_alu instid0(VALU_DEP_3)
	v_mad_co_u64_u32 v[12:13], null, s19, v18, v[12:13]
	v_mad_co_u64_u32 v[18:19], null, s18, v15, 0
	s_clause 0x1
	global_load_b128 v[0:3], v[0:1], off
	global_load_b128 v[4:7], v[4:5], off
	v_add_co_u32 v13, s0, v28, v8
	s_wait_alu 0xf1ff
	v_add_co_ci_u32_e64 v14, s0, v29, v9, s0
	v_dual_mov_b32 v9, v21 :: v_dual_mov_b32 v8, v19
	v_mov_b32_e32 v17, v12
	s_delay_alu instid0(VALU_DEP_2) | instskip(SKIP_2) | instid1(VALU_DEP_4)
	v_mad_co_u64_u32 v[24:25], null, s19, v15, v[8:9]
	v_mad_co_u64_u32 v[25:26], null, s19, v86, v[9:10]
	;; [unrolled: 1-line block ×3, first 2 shown]
	v_lshlrev_b64_e32 v[16:17], 4, v[16:17]
	s_clause 0x1
	global_load_b128 v[8:11], v[10:11], off
	global_load_b128 v[12:15], v[13:14], off
	v_mov_b32_e32 v19, v24
	v_mad_co_u64_u32 v[23:24], null, s19, v30, v[23:24]
	v_dual_mov_b32 v21, v25 :: v_dual_mov_b32 v24, v27
	s_delay_alu instid0(VALU_DEP_3) | instskip(SKIP_1) | instid1(VALU_DEP_3)
	v_lshlrev_b64_e32 v[18:19], 4, v[18:19]
	v_add_co_u32 v16, s0, v28, v16
	v_lshlrev_b64_e32 v[20:21], 4, v[20:21]
	s_delay_alu instid0(VALU_DEP_4)
	v_mad_co_u64_u32 v[24:25], null, s19, v31, v[24:25]
	s_wait_alu 0xf1ff
	v_add_co_ci_u32_e64 v17, s0, v29, v17, s0
	v_add_co_u32 v18, s0, v28, v18
	v_lshlrev_b64_e32 v[22:23], 4, v[22:23]
	s_wait_alu 0xf1ff
	v_add_co_ci_u32_e64 v19, s0, v29, v19, s0
	v_mov_b32_e32 v27, v24
	v_add_co_u32 v20, s0, v28, v20
	s_wait_alu 0xf1ff
	v_add_co_ci_u32_e64 v21, s0, v29, v21, s0
	s_delay_alu instid0(VALU_DEP_3) | instskip(SKIP_3) | instid1(VALU_DEP_3)
	v_lshlrev_b64_e32 v[24:25], 4, v[26:27]
	v_add_co_u32 v22, s0, v28, v22
	s_wait_alu 0xf1ff
	v_add_co_ci_u32_e64 v23, s0, v29, v23, s0
	v_add_co_u32 v36, s0, v28, v24
	s_wait_alu 0xf1ff
	v_add_co_ci_u32_e64 v37, s0, v29, v25, s0
	s_clause 0x4
	global_load_b128 v[32:35], v[16:17], off
	global_load_b128 v[16:19], v[18:19], off
	;; [unrolled: 1-line block ×5, first 2 shown]
.LBB0_13:
	s_or_b32 exec_lo, exec_lo, s1
	s_wait_loadcnt 0x6
	v_add_f64_e32 v[36:37], v[8:9], v[4:5]
	v_add_f64_e32 v[38:39], v[10:11], v[6:7]
	s_wait_loadcnt 0x3
	v_add_f64_e32 v[40:41], v[16:17], v[32:33]
	v_add_f64_e32 v[42:43], v[18:19], v[34:35]
	;; [unrolled: 3-line block ×3, first 2 shown]
	v_add_f64_e32 v[48:49], v[4:5], v[0:1]
	v_add_f64_e64 v[50:51], v[6:7], -v[10:11]
	v_add_f64_e32 v[6:7], v[6:7], v[2:3]
	v_add_f64_e32 v[56:57], v[28:29], v[24:25]
	;; [unrolled: 1-line block ×5, first 2 shown]
	v_add_f64_e64 v[34:35], v[34:35], -v[18:19]
	s_mov_b32 s0, 0xe8584caa
	s_mov_b32 s1, 0x3febb67a
	;; [unrolled: 1-line block ×3, first 2 shown]
	s_wait_alu 0xfffe
	s_mov_b32 s4, s0
	s_load_b64 s[2:3], s[2:3], 0x0
	v_fma_f64 v[0:1], v[36:37], -0.5, v[0:1]
	v_add_f64_e64 v[36:37], v[4:5], -v[8:9]
	v_fma_f64 v[2:3], v[38:39], -0.5, v[2:3]
	v_fma_f64 v[12:13], v[40:41], -0.5, v[12:13]
	v_add_f64_e64 v[38:39], v[32:33], -v[16:17]
	v_fma_f64 v[14:15], v[42:43], -0.5, v[14:15]
	v_add_f64_e64 v[40:41], v[30:31], -v[22:23]
	;; [unrolled: 2-line block ×3, first 2 shown]
	v_fma_f64 v[46:47], v[46:47], -0.5, v[26:27]
	v_add_f64_e32 v[4:5], v[8:9], v[48:49]
	v_add_f64_e32 v[6:7], v[10:11], v[6:7]
	;; [unrolled: 1-line block ×6, first 2 shown]
	v_fma_f64 v[20:21], v[50:51], s[0:1], v[0:1]
	v_fma_f64 v[28:29], v[50:51], s[4:5], v[0:1]
	;; [unrolled: 1-line block ×12, first 2 shown]
	v_mad_u32_u24 v37, v84, 48, 0
	v_lshlrev_b32_e32 v38, 5, v84
	v_mad_i32_i24 v36, v85, 48, 0
	v_mad_i32_i24 v39, v86, 48, 0
	v_cmp_gt_u32_e64 s0, 0x84, v84
	ds_store_b128 v37, v[4:7]
	ds_store_b128 v37, v[20:23] offset:16
	ds_store_b128 v37, v[28:31] offset:32
	ds_store_b128 v36, v[24:27]
	ds_store_b128 v36, v[32:35] offset:16
	ds_store_b128 v36, v[0:3] offset:32
	;; [unrolled: 3-line block ×3, first 2 shown]
	v_sub_nc_u32_e32 v87, v37, v38
	global_wb scope:SCOPE_SE
	s_wait_dscnt 0x0
	s_wait_kmcnt 0x0
	s_barrier_signal -1
	s_barrier_wait -1
	global_inv scope:SCOPE_SE
	ds_load_b128 v[4:7], v87
	ds_load_b128 v[32:35], v87 offset:4752
	ds_load_b128 v[20:23], v87 offset:9504
	;; [unrolled: 1-line block ×4, first 2 shown]
                                        ; implicit-def: $vgpr38_vgpr39
	s_and_saveexec_b32 s1, s0
	s_cbranch_execz .LBB0_15
; %bb.14:
	v_lshlrev_b32_e32 v0, 5, v85
	s_delay_alu instid0(VALU_DEP_1)
	v_sub_nc_u32_e32 v0, v36, v0
	ds_load_b128 v[8:11], v87 offset:7392
	ds_load_b128 v[12:15], v87 offset:12144
	ds_load_b128 v[0:3], v0
	ds_load_b128 v[16:19], v87 offset:16896
	ds_load_b128 v[36:39], v87 offset:21648
.LBB0_15:
	s_wait_alu 0xfffe
	s_or_b32 exec_lo, exec_lo, s1
	v_and_b32_e32 v44, 0xff, v84
	v_and_b32_e32 v41, 0xffff, v85
	s_mov_b32 s4, 0x134454ff
	s_mov_b32 s5, 0x3fee6f0e
	;; [unrolled: 1-line block ×3, first 2 shown]
	v_mul_lo_u16 v40, 0xab, v44
	s_wait_alu 0xfffe
	s_mov_b32 s10, s4
	s_delay_alu instid0(VALU_DEP_1) | instskip(SKIP_1) | instid1(VALU_DEP_2)
	v_lshrrev_b16 v79, 9, v40
	v_mul_u32_u24_e32 v40, 0xaaab, v41
	v_mul_lo_u16 v41, v79, 3
	s_delay_alu instid0(VALU_DEP_2) | instskip(NEXT) | instid1(VALU_DEP_2)
	v_lshrrev_b32_e32 v45, 17, v40
	v_sub_nc_u16 v40, v84, v41
	s_delay_alu instid0(VALU_DEP_2) | instskip(NEXT) | instid1(VALU_DEP_2)
	v_mul_lo_u16 v41, v45, 3
	v_and_b32_e32 v116, 0xff, v40
	s_delay_alu instid0(VALU_DEP_2) | instskip(NEXT) | instid1(VALU_DEP_2)
	v_sub_nc_u16 v40, v85, v41
	v_lshlrev_b32_e32 v55, 6, v116
	s_delay_alu instid0(VALU_DEP_2)
	v_and_b32_e32 v46, 0xffff, v40
	s_clause 0x2
	global_load_b128 v[40:43], v55, s[8:9]
	global_load_b128 v[47:50], v55, s[8:9] offset:16
	global_load_b128 v[51:54], v55, s[8:9] offset:32
	v_lshlrev_b32_e32 v71, 6, v46
	s_clause 0x4
	global_load_b128 v[55:58], v55, s[8:9] offset:48
	global_load_b128 v[59:62], v71, s[8:9]
	global_load_b128 v[63:66], v71, s[8:9] offset:16
	global_load_b128 v[67:70], v71, s[8:9] offset:32
	;; [unrolled: 1-line block ×3, first 2 shown]
	global_wb scope:SCOPE_SE
	s_wait_loadcnt_dscnt 0x0
	s_barrier_signal -1
	s_barrier_wait -1
	global_inv scope:SCOPE_SE
	v_mul_f64_e32 v[75:76], v[34:35], v[42:43]
	v_mul_f64_e32 v[77:78], v[22:23], v[49:50]
	;; [unrolled: 1-line block ×16, first 2 shown]
	v_fma_f64 v[32:33], v[32:33], v[40:41], -v[75:76]
	v_fma_f64 v[20:21], v[20:21], v[47:48], -v[77:78]
	;; [unrolled: 1-line block ×3, first 2 shown]
	v_fma_f64 v[34:35], v[34:35], v[40:41], v[42:43]
	v_fma_f64 v[28:29], v[28:29], v[55:56], -v[90:91]
	v_fma_f64 v[22:23], v[22:23], v[47:48], v[49:50]
	v_fma_f64 v[26:27], v[26:27], v[51:52], v[53:54]
	;; [unrolled: 1-line block ×3, first 2 shown]
	v_fma_f64 v[8:9], v[8:9], v[59:60], -v[92:93]
	v_fma_f64 v[12:13], v[12:13], v[63:64], -v[94:95]
	v_fma_f64 v[16:17], v[16:17], v[67:68], -v[96:97]
	v_fma_f64 v[10:11], v[10:11], v[59:60], v[61:62]
	v_fma_f64 v[36:37], v[36:37], v[71:72], -v[98:99]
	v_fma_f64 v[14:15], v[14:15], v[63:64], v[65:66]
	v_fma_f64 v[18:19], v[18:19], v[67:68], v[69:70]
	;; [unrolled: 1-line block ×3, first 2 shown]
	v_add_f64_e32 v[59:60], v[4:5], v[32:33]
	v_add_f64_e32 v[40:41], v[20:21], v[24:25]
	;; [unrolled: 1-line block ×4, first 2 shown]
	v_add_f64_e64 v[71:72], v[32:33], -v[28:29]
	v_add_f64_e32 v[47:48], v[22:23], v[26:27]
	v_add_f64_e32 v[49:50], v[34:35], v[30:31]
	;; [unrolled: 1-line block ×3, first 2 shown]
	v_add_f64_e64 v[67:68], v[34:35], -v[30:31]
	v_add_f64_e32 v[51:52], v[12:13], v[16:17]
	v_add_f64_e32 v[65:66], v[2:3], v[10:11]
	;; [unrolled: 1-line block ×3, first 2 shown]
	v_add_f64_e64 v[69:70], v[22:23], -v[26:27]
	v_add_f64_e32 v[55:56], v[14:15], v[18:19]
	v_add_f64_e32 v[57:58], v[10:11], v[38:39]
	v_add_f64_e64 v[73:74], v[10:11], -v[38:39]
	v_add_f64_e64 v[75:76], v[8:9], -v[36:37]
	;; [unrolled: 1-line block ×16, first 2 shown]
	v_fma_f64 v[40:41], v[40:41], -0.5, v[4:5]
	v_add_f64_e32 v[22:23], v[61:62], v[22:23]
	v_fma_f64 v[4:5], v[42:43], -0.5, v[4:5]
	v_add_f64_e64 v[42:43], v[20:21], -v[24:25]
	v_fma_f64 v[47:48], v[47:48], -0.5, v[6:7]
	v_fma_f64 v[6:7], v[49:50], -0.5, v[6:7]
	v_add_f64_e64 v[49:50], v[14:15], -v[18:19]
	v_fma_f64 v[51:52], v[51:52], -0.5, v[0:1]
	v_add_f64_e32 v[14:15], v[65:66], v[14:15]
	v_fma_f64 v[0:1], v[53:54], -0.5, v[0:1]
	v_add_f64_e64 v[53:54], v[12:13], -v[16:17]
	v_fma_f64 v[55:56], v[55:56], -0.5, v[2:3]
	v_fma_f64 v[2:3], v[57:58], -0.5, v[2:3]
	v_add_f64_e64 v[57:58], v[32:33], -v[20:21]
	v_add_f64_e64 v[32:33], v[20:21], -v[32:33]
	v_add_f64_e32 v[20:21], v[59:60], v[20:21]
	v_add_f64_e32 v[12:13], v[63:64], v[12:13]
	;; [unrolled: 1-line block ×4, first 2 shown]
	v_fma_f64 v[59:60], v[67:68], s[4:5], v[40:41]
	s_wait_alu 0xfffe
	v_fma_f64 v[40:41], v[67:68], s[10:11], v[40:41]
	v_fma_f64 v[61:62], v[69:70], s[10:11], v[4:5]
	;; [unrolled: 1-line block ×15, first 2 shown]
	s_mov_b32 s4, 0x4755a5e
	s_mov_b32 s5, 0x3fe2cf23
	;; [unrolled: 1-line block ×3, first 2 shown]
	s_wait_alu 0xfffe
	s_mov_b32 s10, s4
	v_add_f64_e32 v[57:58], v[57:58], v[77:78]
	v_add_f64_e32 v[32:33], v[32:33], v[88:89]
	;; [unrolled: 1-line block ×10, first 2 shown]
	v_fma_f64 v[20:21], v[69:70], s[4:5], v[59:60]
	s_wait_alu 0xfffe
	v_fma_f64 v[22:23], v[69:70], s[10:11], v[40:41]
	v_fma_f64 v[24:25], v[67:68], s[4:5], v[61:62]
	;; [unrolled: 1-line block ×15, first 2 shown]
	s_mov_b32 s4, 0x372fe950
	s_mov_b32 s5, 0x3fd3c6ef
	v_add_f64_e32 v[0:1], v[8:9], v[28:29]
	v_add_f64_e32 v[2:3], v[10:11], v[30:31]
	;; [unrolled: 1-line block ×4, first 2 shown]
	v_and_b32_e32 v36, 0xffff, v79
	v_lshlrev_b32_e32 v37, 4, v116
	s_delay_alu instid0(VALU_DEP_2)
	v_mul_u32_u24_e32 v36, 0xf0, v36
	s_wait_alu 0xfffe
	v_fma_f64 v[40:41], v[57:58], s[4:5], v[20:21]
	v_fma_f64 v[8:9], v[57:58], s[4:5], v[22:23]
	;; [unrolled: 1-line block ×16, first 2 shown]
	v_add3_u32 v36, 0, v36, v37
	ds_store_b128 v36, v[0:3]
	ds_store_b128 v36, v[40:43] offset:48
	ds_store_b128 v36, v[12:15] offset:96
	;; [unrolled: 1-line block ×4, first 2 shown]
	s_and_saveexec_b32 s1, s0
	s_cbranch_execz .LBB0_17
; %bb.16:
	v_mul_lo_u16 v36, v45, 15
	v_lshlrev_b32_e32 v37, 4, v46
	s_delay_alu instid0(VALU_DEP_2) | instskip(NEXT) | instid1(VALU_DEP_1)
	v_and_b32_e32 v36, 0xffff, v36
	v_lshlrev_b32_e32 v36, 4, v36
	s_delay_alu instid0(VALU_DEP_1)
	v_add3_u32 v36, 0, v37, v36
	ds_store_b128 v36, v[16:19]
	ds_store_b128 v36, v[20:23] offset:48
	ds_store_b128 v36, v[24:27] offset:96
	ds_store_b128 v36, v[28:31] offset:144
	ds_store_b128 v36, v[32:35] offset:192
.LBB0_17:
	s_wait_alu 0xfffe
	s_or_b32 exec_lo, exec_lo, s1
	v_cmp_gt_u32_e64 s0, 0x87, v84
	global_wb scope:SCOPE_SE
	s_wait_dscnt 0x0
	s_barrier_signal -1
	s_barrier_wait -1
	global_inv scope:SCOPE_SE
                                        ; implicit-def: $vgpr38_vgpr39
	s_and_saveexec_b32 s1, s0
	s_cbranch_execz .LBB0_19
; %bb.18:
	ds_load_b128 v[0:3], v87
	ds_load_b128 v[40:43], v87 offset:2160
	ds_load_b128 v[12:15], v87 offset:4320
	;; [unrolled: 1-line block ×10, first 2 shown]
.LBB0_19:
	s_wait_alu 0xfffe
	s_or_b32 exec_lo, exec_lo, s1
	global_wb scope:SCOPE_SE
	s_wait_dscnt 0x0
	s_barrier_signal -1
	s_barrier_wait -1
	global_inv scope:SCOPE_SE
	s_and_saveexec_b32 s33, s0
	s_cbranch_execz .LBB0_21
; %bb.20:
	v_mul_lo_u16 v44, 0x89, v44
	s_mov_b32 s0, 0x640f44db
	s_mov_b32 s4, 0xd9c712b6
	;; [unrolled: 1-line block ×4, first 2 shown]
	v_lshrrev_b16 v88, 11, v44
	s_mov_b32 s14, 0x9bcd5057
	s_mov_b32 s1, 0xbfc2375f
	;; [unrolled: 1-line block ×4, first 2 shown]
	v_mul_lo_u16 v44, v88, 15
	s_mov_b32 s13, 0xbfed1bb4
	s_mov_b32 s18, 0x7f775887
	s_mov_b32 s23, 0x3fe82f19
	s_mov_b32 s15, 0xbfeeb42a
	v_sub_nc_u16 v44, v84, v44
	s_mov_b32 s24, 0xfd768dbf
	s_mov_b32 s29, 0xbfe82f19
	;; [unrolled: 1-line block ×4, first 2 shown]
	v_and_b32_e32 v89, 0xff, v44
	s_mov_b32 s19, 0xbfe4f49e
	s_mov_b32 s25, 0x3fd207e7
	;; [unrolled: 1-line block ×4, first 2 shown]
	v_mul_u32_u24_e32 v44, 10, v89
	s_wait_alu 0xfffe
	s_mov_b32 s26, s24
	s_mov_b32 s36, s10
	;; [unrolled: 1-line block ×4, first 2 shown]
	v_lshlrev_b32_e32 v72, 4, v44
	s_mov_b32 s21, 0x3feaeb8c
	s_mov_b32 s31, 0xbfe14ced
	;; [unrolled: 1-line block ×4, first 2 shown]
	s_clause 0x9
	global_load_b128 v[90:93], v72, s[8:9] offset:192
	global_load_b128 v[76:79], v72, s[8:9] offset:208
	;; [unrolled: 1-line block ×10, first 2 shown]
	s_mov_b32 s35, 0x3fe14ced
	s_wait_alu 0xfffe
	s_mov_b32 s34, s30
	s_wait_loadcnt 0x9
	v_mul_f64_e32 v[94:95], v[40:41], v[92:93]
	v_mul_f64_e32 v[92:93], v[42:43], v[92:93]
	s_wait_loadcnt 0x8
	v_mul_f64_e32 v[96:97], v[12:13], v[78:79]
	v_mul_f64_e32 v[78:79], v[14:15], v[78:79]
	s_wait_loadcnt 0x6
	v_mul_f64_e32 v[98:99], v[16:17], v[66:67]
	v_mul_f64_e32 v[66:67], v[18:19], v[66:67]
	s_wait_loadcnt 0x5
	v_mul_f64_e32 v[100:101], v[20:21], v[62:63]
	s_wait_loadcnt 0x2
	v_mul_f64_e32 v[102:103], v[4:5], v[54:55]
	;; [unrolled: 2-line block ×3, first 2 shown]
	v_mul_f64_e32 v[54:55], v[6:7], v[54:55]
	v_mul_f64_e32 v[46:47], v[30:31], v[46:47]
	s_wait_loadcnt 0x0
	v_mul_f64_e32 v[106:107], v[32:33], v[74:75]
	v_mul_f64_e32 v[74:75], v[34:35], v[74:75]
	;; [unrolled: 1-line block ×3, first 2 shown]
	v_fma_f64 v[42:43], v[42:43], v[90:91], v[94:95]
	v_fma_f64 v[40:41], v[40:41], v[90:91], -v[92:93]
	v_mul_f64_e32 v[94:95], v[36:37], v[70:71]
	v_mul_f64_e32 v[90:91], v[8:9], v[50:51]
	;; [unrolled: 1-line block ×6, first 2 shown]
	v_fma_f64 v[96:97], v[14:15], v[76:77], v[96:97]
	v_fma_f64 v[76:77], v[12:13], v[76:77], -v[78:79]
	v_fma_f64 v[12:13], v[30:31], v[44:45], v[104:105]
	v_fma_f64 v[22:23], v[22:23], v[60:61], v[100:101]
	v_fma_f64 v[20:21], v[20:21], v[60:61], -v[62:63]
	v_add_f64_e32 v[108:109], v[2:3], v[42:43]
	v_add_f64_e32 v[78:79], v[0:1], v[40:41]
	v_fma_f64 v[14:15], v[38:39], v[68:69], v[94:95]
	v_fma_f64 v[38:39], v[18:19], v[64:65], v[98:99]
	;; [unrolled: 1-line block ×4, first 2 shown]
	v_fma_f64 v[10:11], v[36:37], v[68:69], -v[70:71]
	v_fma_f64 v[26:27], v[16:17], v[64:65], -v[66:67]
	v_fma_f64 v[36:37], v[6:7], v[52:53], v[102:103]
	v_fma_f64 v[30:31], v[8:9], v[48:49], -v[50:51]
	v_fma_f64 v[16:17], v[24:25], v[56:57], -v[58:59]
	v_fma_f64 v[24:25], v[4:5], v[52:53], -v[54:55]
	v_fma_f64 v[8:9], v[28:29], v[44:45], -v[46:47]
	v_fma_f64 v[4:5], v[34:35], v[72:73], v[106:107]
	v_fma_f64 v[6:7], v[32:33], v[72:73], -v[74:75]
	v_add_f64_e32 v[28:29], v[108:109], v[96:97]
	v_add_f64_e32 v[44:45], v[78:79], v[76:77]
	;; [unrolled: 1-line block ×3, first 2 shown]
	v_add_f64_e64 v[34:35], v[42:43], -v[14:15]
	v_add_f64_e32 v[42:43], v[38:39], v[22:23]
	v_add_f64_e32 v[46:47], v[90:91], v[18:19]
	v_add_f64_e64 v[50:51], v[40:41], -v[10:11]
	v_add_f64_e32 v[40:41], v[40:41], v[10:11]
	v_add_f64_e32 v[48:49], v[36:37], v[12:13]
	v_add_f64_e64 v[66:67], v[36:37], -v[12:13]
	v_add_f64_e64 v[72:73], v[90:91], -v[18:19]
	;; [unrolled: 1-line block ×4, first 2 shown]
	v_add_f64_e32 v[56:57], v[96:97], v[4:5]
	v_add_f64_e64 v[60:61], v[76:77], -v[6:7]
	v_add_f64_e64 v[62:63], v[96:97], -v[4:5]
	v_add_f64_e32 v[64:65], v[76:77], v[6:7]
	v_add_f64_e32 v[74:75], v[30:31], v[16:17]
	v_add_f64_e64 v[52:53], v[26:27], -v[20:21]
	v_add_f64_e64 v[68:69], v[38:39], -v[22:23]
	v_add_f64_e32 v[70:71], v[26:27], v[20:21]
	v_add_f64_e32 v[28:29], v[28:29], v[36:37]
	;; [unrolled: 1-line block ×4, first 2 shown]
	v_mul_f64_e32 v[76:77], s[14:15], v[32:33]
	v_mul_f64_e32 v[94:95], s[28:29], v[34:35]
	;; [unrolled: 1-line block ×21, first 2 shown]
	s_wait_alu 0xfffe
	v_mul_f64_e32 v[134:135], s[34:35], v[62:63]
	v_mul_f64_e32 v[136:137], s[24:25], v[62:63]
	;; [unrolled: 1-line block ×14, first 2 shown]
	v_add_f64_e32 v[28:29], v[28:29], v[90:91]
	v_mul_f64_e32 v[90:91], s[10:11], v[62:63]
	v_add_f64_e32 v[24:25], v[24:25], v[30:31]
	v_fma_f64 v[158:159], v[50:51], s[24:25], v[76:77]
	v_fma_f64 v[76:77], v[50:51], s[26:27], v[76:77]
	;; [unrolled: 1-line block ×3, first 2 shown]
	v_fma_f64 v[94:95], v[40:41], s[18:19], -v[94:95]
	v_fma_f64 v[164:165], v[50:51], s[10:11], v[96:97]
	v_fma_f64 v[168:169], v[50:51], s[38:39], v[100:101]
	;; [unrolled: 1-line block ×4, first 2 shown]
	v_fma_f64 v[102:103], v[40:41], s[4:5], -v[102:103]
	v_mul_f64_e32 v[62:63], s[12:13], v[62:63]
	v_fma_f64 v[30:31], v[40:41], s[14:15], v[78:79]
	v_fma_f64 v[78:79], v[40:41], s[14:15], -v[78:79]
	v_fma_f64 v[160:161], v[50:51], s[22:23], v[92:93]
	v_fma_f64 v[92:93], v[50:51], s[28:29], v[92:93]
	;; [unrolled: 1-line block ×4, first 2 shown]
	v_fma_f64 v[98:99], v[40:41], s[0:1], -v[98:99]
	v_fma_f64 v[172:173], v[50:51], s[34:35], v[32:33]
	v_fma_f64 v[174:175], v[40:41], s[20:21], v[34:35]
	v_fma_f64 v[32:33], v[50:51], s[30:31], v[32:33]
	v_fma_f64 v[34:35], v[40:41], s[20:21], -v[34:35]
	v_fma_f64 v[40:41], v[58:59], s[22:23], v[118:119]
	v_fma_f64 v[50:51], v[58:59], s[34:35], v[120:121]
	v_fma_f64 v[176:177], v[58:59], s[26:27], v[124:125]
	v_fma_f64 v[124:125], v[58:59], s[24:25], v[124:125]
	v_fma_f64 v[178:179], v[58:59], s[10:11], v[48:49]
	v_fma_f64 v[48:49], v[58:59], s[36:37], v[48:49]
	v_fma_f64 v[182:183], v[60:61], s[26:27], v[130:131]
	v_fma_f64 v[190:191], v[64:65], s[18:19], v[138:139]
	v_fma_f64 v[138:139], v[64:65], s[18:19], -v[138:139]
	v_fma_f64 v[180:181], v[60:61], s[36:37], v[128:129]
	v_fma_f64 v[128:129], v[60:61], s[10:11], v[128:129]
	v_fma_f64 v[130:131], v[60:61], s[24:25], v[130:131]
	v_fma_f64 v[184:185], v[60:61], s[22:23], v[132:133]
	v_fma_f64 v[188:189], v[64:65], s[14:15], v[136:137]
	v_add_f64_e32 v[28:29], v[28:29], v[38:39]
	v_fma_f64 v[38:39], v[58:59], s[28:29], v[118:119]
	v_add_f64_e32 v[24:25], v[24:25], v[26:27]
	v_fma_f64 v[118:119], v[58:59], s[30:31], v[120:121]
	v_fma_f64 v[120:121], v[58:59], s[12:13], v[122:123]
	;; [unrolled: 1-line block ×7, first 2 shown]
	v_fma_f64 v[90:91], v[64:65], s[0:1], -v[90:91]
	v_add_f64_e32 v[76:77], v[2:3], v[76:77]
	v_add_f64_e32 v[94:95], v[0:1], v[94:95]
	;; [unrolled: 1-line block ×5, first 2 shown]
	v_fma_f64 v[132:133], v[60:61], s[38:39], v[56:57]
	v_fma_f64 v[56:57], v[60:61], s[12:13], v[56:57]
	;; [unrolled: 1-line block ×3, first 2 shown]
	v_fma_f64 v[134:135], v[64:65], s[20:21], -v[134:135]
	v_add_f64_e32 v[158:159], v[2:3], v[158:159]
	v_fma_f64 v[136:137], v[64:65], s[14:15], -v[136:137]
	v_add_f64_e32 v[30:31], v[0:1], v[30:31]
	v_fma_f64 v[192:193], v[64:65], s[4:5], v[62:63]
	v_fma_f64 v[62:63], v[64:65], s[4:5], -v[62:63]
	v_add_f64_e32 v[64:65], v[0:1], v[78:79]
	v_add_f64_e32 v[162:163], v[0:1], v[162:163]
	;; [unrolled: 1-line block ×14, first 2 shown]
	v_mul_f64_e32 v[152:153], s[30:31], v[72:73]
	v_add_f64_e32 v[20:21], v[24:25], v[20:21]
	v_mul_f64_e32 v[154:155], s[10:11], v[72:73]
	v_mul_f64_e32 v[72:73], s[28:29], v[72:73]
	v_fma_f64 v[28:29], v[36:37], s[20:21], v[142:143]
	v_fma_f64 v[142:143], v[36:37], s[20:21], -v[142:143]
	v_fma_f64 v[24:25], v[36:37], s[4:5], v[144:145]
	v_fma_f64 v[34:35], v[36:37], s[4:5], -v[144:145]
	;; [unrolled: 2-line block ×3, first 2 shown]
	v_add_f64_e32 v[76:77], v[126:127], v[76:77]
	v_add_f64_e32 v[90:91], v[90:91], v[94:95]
	;; [unrolled: 1-line block ×5, first 2 shown]
	v_fma_f64 v[78:79], v[36:37], s[18:19], v[140:141]
	v_fma_f64 v[140:141], v[36:37], s[18:19], -v[140:141]
	v_fma_f64 v[174:175], v[36:37], s[0:1], v[66:67]
	v_fma_f64 v[36:37], v[36:37], s[0:1], -v[66:67]
	v_add_f64_e32 v[58:59], v[58:59], v[158:159]
	v_mul_f64_e32 v[104:105], s[0:1], v[42:43]
	v_add_f64_e32 v[30:31], v[60:61], v[30:31]
	v_mul_f64_e32 v[44:45], s[4:5], v[42:43]
	v_mul_f64_e32 v[106:107], s[18:19], v[42:43]
	v_add_f64_e32 v[64:65], v[134:135], v[64:65]
	v_add_f64_e32 v[162:163], v[186:187], v[162:163]
	;; [unrolled: 1-line block ×14, first 2 shown]
	v_mul_f64_e32 v[108:109], s[20:21], v[42:43]
	v_add_f64_e32 v[16:17], v[20:21], v[16:17]
	v_mul_f64_e32 v[42:43], s[14:15], v[42:43]
	v_mul_f64_e32 v[156:157], s[36:37], v[68:69]
	v_mul_f64_e32 v[66:67], s[38:39], v[68:69]
	v_mul_f64_e32 v[158:159], s[28:29], v[68:69]
	v_mul_f64_e32 v[60:61], s[34:35], v[68:69]
	v_mul_f64_e32 v[68:69], s[26:27], v[68:69]
	v_fma_f64 v[180:181], v[54:55], s[12:13], v[110:111]
	v_fma_f64 v[110:111], v[54:55], s[38:39], v[110:111]
	;; [unrolled: 1-line block ×11, first 2 shown]
	v_fma_f64 v[116:117], v[74:75], s[4:5], -v[148:149]
	v_fma_f64 v[136:137], v[74:75], s[14:15], v[150:151]
	v_fma_f64 v[138:139], v[74:75], s[14:15], -v[150:151]
	v_fma_f64 v[148:149], v[74:75], s[20:21], v[152:153]
	;; [unrolled: 2-line block ×4, first 2 shown]
	v_fma_f64 v[72:73], v[74:75], s[18:19], -v[72:73]
	v_add_f64_e32 v[38:39], v[38:39], v[76:77]
	v_add_f64_e32 v[74:75], v[142:143], v[90:91]
	;; [unrolled: 1-line block ×22, first 2 shown]
	v_fma_f64 v[126:127], v[52:53], s[10:11], v[104:105]
	v_fma_f64 v[104:105], v[52:53], s[36:37], v[104:105]
	;; [unrolled: 1-line block ×11, first 2 shown]
	v_fma_f64 v[18:19], v[70:71], s[0:1], -v[156:157]
	v_fma_f64 v[52:53], v[70:71], s[4:5], v[66:67]
	v_fma_f64 v[66:67], v[70:71], s[4:5], -v[66:67]
	v_fma_f64 v[106:107], v[70:71], s[18:19], v[158:159]
	;; [unrolled: 2-line block ×4, first 2 shown]
	v_fma_f64 v[68:69], v[70:71], s[14:15], -v[68:69]
	v_add_f64_e32 v[70:71], v[20:21], v[76:77]
	v_add_f64_e32 v[62:63], v[62:63], v[26:27]
	;; [unrolled: 1-line block ×44, first 2 shown]
	v_and_b32_e32 v8, 0xffff, v88
	v_lshlrev_b32_e32 v9, 4, v89
	s_delay_alu instid0(VALU_DEP_2) | instskip(NEXT) | instid1(VALU_DEP_1)
	v_mul_u32_u24_e32 v8, 0xa50, v8
	v_add3_u32 v8, 0, v8, v9
	ds_store_b128 v8, v[32:35] offset:480
	ds_store_b128 v8, v[28:31] offset:720
	;; [unrolled: 1-line block ×9, first 2 shown]
	ds_store_b128 v8, v[44:47]
	ds_store_b128 v8, v[10:13] offset:2400
.LBB0_21:
	s_or_b32 exec_lo, exec_lo, s33
	v_and_b32_e32 v0, 0xffff, v86
	global_wb scope:SCOPE_SE
	s_wait_dscnt 0x0
	s_barrier_signal -1
	s_barrier_wait -1
	global_inv scope:SCOPE_SE
	v_mul_u32_u24_e32 v0, 0x8d31, v0
	s_mov_b32 s5, 0xbfebb67a
	s_delay_alu instid0(VALU_DEP_1) | instskip(NEXT) | instid1(VALU_DEP_1)
	v_lshrrev_b32_e32 v1, 16, v0
	v_sub_nc_u16 v0, v86, v1
	s_delay_alu instid0(VALU_DEP_1) | instskip(SKIP_1) | instid1(VALU_DEP_2)
	v_lshrrev_b16 v2, 1, v0
	v_lshlrev_b32_e32 v0, 1, v84
	v_add_nc_u16 v2, v2, v1
	v_mov_b32_e32 v1, 0
	s_delay_alu instid0(VALU_DEP_2) | instskip(NEXT) | instid1(VALU_DEP_2)
	v_lshrrev_b16 v4, 7, v2
	v_lshlrev_b64_e32 v[2:3], 4, v[0:1]
	s_delay_alu instid0(VALU_DEP_2) | instskip(NEXT) | instid1(VALU_DEP_2)
	v_mul_lo_u16 v0, 0xa5, v4
	v_add_co_u32 v2, s0, s8, v2
	s_wait_alu 0xf1ff
	s_delay_alu instid0(VALU_DEP_3) | instskip(NEXT) | instid1(VALU_DEP_3)
	v_add_co_ci_u32_e64 v3, s0, s9, v3, s0
	v_sub_nc_u16 v0, v86, v0
	s_mov_b32 s0, 0xe8584caa
	s_mov_b32 s1, 0x3febb67a
	s_clause 0x1
	global_load_b128 v[4:7], v[2:3], off offset:2592
	global_load_b128 v[8:11], v[2:3], off offset:2608
	v_and_b32_e32 v0, 0xffff, v0
	s_wait_alu 0xfffe
	s_mov_b32 s4, s0
	s_delay_alu instid0(VALU_DEP_1)
	v_lshlrev_b32_e32 v16, 5, v0
	v_lshl_add_u32 v0, v0, 4, 0
	s_clause 0x1
	global_load_b128 v[12:15], v16, s[8:9] offset:2592
	global_load_b128 v[16:19], v16, s[8:9] offset:2608
	ds_load_b128 v[20:23], v87 offset:7920
	ds_load_b128 v[24:27], v87 offset:15840
	;; [unrolled: 1-line block ×6, first 2 shown]
	s_wait_loadcnt_dscnt 0x305
	v_mul_f64_e32 v[44:45], v[22:23], v[6:7]
	s_wait_loadcnt_dscnt 0x204
	v_mul_f64_e32 v[46:47], v[26:27], v[10:11]
	v_mul_f64_e32 v[48:49], v[20:21], v[6:7]
	;; [unrolled: 1-line block ×3, first 2 shown]
	s_wait_dscnt 0x3
	v_mul_f64_e32 v[52:53], v[30:31], v[6:7]
	s_wait_dscnt 0x2
	v_mul_f64_e32 v[54:55], v[34:35], v[10:11]
	v_mul_f64_e32 v[6:7], v[28:29], v[6:7]
	;; [unrolled: 1-line block ×3, first 2 shown]
	s_wait_loadcnt_dscnt 0x101
	v_mul_f64_e32 v[56:57], v[38:39], v[14:15]
	s_wait_loadcnt_dscnt 0x0
	v_mul_f64_e32 v[58:59], v[42:43], v[18:19]
	v_mul_f64_e32 v[14:15], v[36:37], v[14:15]
	;; [unrolled: 1-line block ×3, first 2 shown]
	v_fma_f64 v[20:21], v[20:21], v[4:5], -v[44:45]
	v_fma_f64 v[24:25], v[24:25], v[8:9], -v[46:47]
	v_fma_f64 v[22:23], v[22:23], v[4:5], v[48:49]
	v_fma_f64 v[26:27], v[26:27], v[8:9], v[50:51]
	v_fma_f64 v[28:29], v[28:29], v[4:5], -v[52:53]
	v_fma_f64 v[32:33], v[32:33], v[8:9], -v[54:55]
	v_fma_f64 v[30:31], v[30:31], v[4:5], v[6:7]
	v_fma_f64 v[34:35], v[34:35], v[8:9], v[10:11]
	v_lshl_add_u32 v5, v85, 4, 0
	v_lshl_add_u32 v4, v86, 4, 0
	v_fma_f64 v[36:37], v[36:37], v[12:13], -v[56:57]
	v_fma_f64 v[40:41], v[40:41], v[16:17], -v[58:59]
	v_fma_f64 v[38:39], v[38:39], v[12:13], v[14:15]
	v_fma_f64 v[42:43], v[42:43], v[16:17], v[18:19]
	ds_load_b128 v[6:9], v87
	ds_load_b128 v[10:13], v5
	;; [unrolled: 1-line block ×3, first 2 shown]
	global_wb scope:SCOPE_SE
	s_wait_dscnt 0x0
	s_barrier_signal -1
	s_barrier_wait -1
	global_inv scope:SCOPE_SE
	v_add_f64_e32 v[54:55], v[6:7], v[20:21]
	v_add_f64_e32 v[18:19], v[20:21], v[24:25]
	v_add_f64_e64 v[20:21], v[20:21], -v[24:25]
	v_add_f64_e32 v[44:45], v[22:23], v[26:27]
	v_add_f64_e64 v[56:57], v[22:23], -v[26:27]
	v_add_f64_e32 v[46:47], v[28:29], v[32:33]
	v_add_f64_e32 v[22:23], v[8:9], v[22:23]
	;; [unrolled: 1-line block ×5, first 2 shown]
	v_add_f64_e64 v[30:31], v[30:31], -v[34:35]
	v_add_f64_e64 v[28:29], v[28:29], -v[32:33]
	v_add_f64_e32 v[50:51], v[36:37], v[40:41]
	v_add_f64_e32 v[62:63], v[14:15], v[36:37]
	;; [unrolled: 1-line block ×3, first 2 shown]
	v_add_f64_e64 v[64:65], v[38:39], -v[42:43]
	v_add_f64_e32 v[38:39], v[16:17], v[38:39]
	v_add_f64_e64 v[66:67], v[36:37], -v[40:41]
	v_fma_f64 v[18:19], v[18:19], -0.5, v[6:7]
	v_add_f64_e32 v[6:7], v[54:55], v[24:25]
	v_fma_f64 v[44:45], v[44:45], -0.5, v[8:9]
	v_fma_f64 v[46:47], v[46:47], -0.5, v[10:11]
	v_add_f64_e32 v[8:9], v[22:23], v[26:27]
	v_fma_f64 v[48:49], v[48:49], -0.5, v[12:13]
	v_add_f64_e32 v[10:11], v[58:59], v[32:33]
	v_add_f64_e32 v[12:13], v[60:61], v[34:35]
	v_fma_f64 v[50:51], v[50:51], -0.5, v[14:15]
	v_fma_f64 v[52:53], v[52:53], -0.5, v[16:17]
	v_add_f64_e32 v[32:33], v[38:39], v[42:43]
	v_fma_f64 v[14:15], v[56:57], s[0:1], v[18:19]
	s_wait_alu 0xfffe
	v_fma_f64 v[18:19], v[56:57], s[4:5], v[18:19]
	v_fma_f64 v[16:17], v[20:21], s[4:5], v[44:45]
	v_fma_f64 v[20:21], v[20:21], s[0:1], v[44:45]
	v_fma_f64 v[22:23], v[30:31], s[0:1], v[46:47]
	v_fma_f64 v[26:27], v[30:31], s[4:5], v[46:47]
	v_fma_f64 v[24:25], v[28:29], s[4:5], v[48:49]
	v_fma_f64 v[28:29], v[28:29], s[0:1], v[48:49]
	v_add_f64_e32 v[30:31], v[62:63], v[40:41]
	v_fma_f64 v[34:35], v[64:65], s[0:1], v[50:51]
	v_fma_f64 v[38:39], v[64:65], s[4:5], v[50:51]
	;; [unrolled: 1-line block ×4, first 2 shown]
	ds_store_b128 v87, v[6:9]
	ds_store_b128 v87, v[14:17] offset:2640
	ds_store_b128 v87, v[18:21] offset:5280
	;; [unrolled: 1-line block ×8, first 2 shown]
	global_wb scope:SCOPE_SE
	s_wait_dscnt 0x0
	s_barrier_signal -1
	s_barrier_wait -1
	global_inv scope:SCOPE_SE
	s_and_saveexec_b32 s10, vcc_lo
	s_cbranch_execz .LBB0_23
; %bb.22:
	v_lshlrev_b32_e32 v0, 1, v86
	s_clause 0x1
	global_load_b128 v[6:9], v[2:3], off offset:7888
	global_load_b128 v[10:13], v[2:3], off offset:7872
	v_add_nc_u32_e32 v76, 0xa5, v84
	v_mul_lo_u32 v58, s3, v82
	v_mul_lo_u32 v59, s2, v83
	v_lshlrev_b64_e32 v[14:15], 4, v[0:1]
	v_lshlrev_b32_e32 v0, 1, v85
	v_mad_co_u64_u32 v[62:63], null, s2, v82, 0
	v_mul_hi_u32 v78, 0x21195767, v76
	s_delay_alu instid0(VALU_DEP_3) | instskip(SKIP_4) | instid1(VALU_DEP_4)
	v_lshlrev_b64_e32 v[0:1], 4, v[0:1]
	v_add_co_u32 v14, vcc_lo, s8, v14
	s_wait_alu 0xfffd
	v_add_co_ci_u32_e32 v15, vcc_lo, s9, v15, vcc_lo
	v_add3_u32 v63, v63, v59, v58
	v_add_co_u32 v22, vcc_lo, s8, v0
	s_wait_alu 0xfffd
	v_add_co_ci_u32_e32 v23, vcc_lo, s9, v1, vcc_lo
	s_clause 0x3
	global_load_b128 v[0:3], v[14:15], off offset:7872
	global_load_b128 v[14:17], v[14:15], off offset:7888
	;; [unrolled: 1-line block ×4, first 2 shown]
	ds_load_b128 v[26:29], v87 offset:7920
	ds_load_b128 v[30:33], v87 offset:15840
	;; [unrolled: 1-line block ×6, first 2 shown]
	ds_load_b128 v[50:53], v5
	ds_load_b128 v[54:57], v87
	v_mul_hi_u32 v5, 0x21195767, v84
	v_lshrrev_b32_e32 v78, 6, v78
	ds_load_b128 v[58:61], v4
	v_lshrrev_b32_e32 v5, 6, v5
	s_delay_alu instid0(VALU_DEP_1) | instskip(SKIP_3) | instid1(VALU_DEP_4)
	v_mul_u32_u24_e32 v82, 0x1ef, v5
	v_lshlrev_b64_e32 v[4:5], 4, v[62:63]
	v_lshlrev_b64_e32 v[62:63], 4, v[80:81]
	v_mul_u32_u24_e32 v81, 0x1ef, v78
	v_sub_nc_u32_e32 v80, v84, v82
	s_delay_alu instid0(VALU_DEP_4) | instskip(NEXT) | instid1(VALU_DEP_3)
	v_add_co_u32 v83, vcc_lo, s6, v4
	v_sub_nc_u32_e32 v76, v76, v81
	s_delay_alu instid0(VALU_DEP_3)
	v_add_nc_u32_e32 v85, 0x1ef, v80
	s_wait_loadcnt_dscnt 0x507
	v_mul_f64_e32 v[66:67], v[8:9], v[32:33]
	s_wait_loadcnt 0x4
	v_mul_f64_e32 v[64:65], v[12:13], v[28:29]
	v_mul_f64_e32 v[28:29], v[10:11], v[28:29]
	;; [unrolled: 1-line block ×3, first 2 shown]
	s_wait_loadcnt_dscnt 0x306
	v_mul_f64_e32 v[68:69], v[2:3], v[36:37]
	s_wait_loadcnt_dscnt 0x205
	v_mul_f64_e32 v[70:71], v[16:17], v[40:41]
	v_mul_f64_e32 v[36:37], v[0:1], v[36:37]
	;; [unrolled: 1-line block ×3, first 2 shown]
	s_wait_loadcnt_dscnt 0x104
	v_mul_f64_e32 v[72:73], v[20:21], v[44:45]
	s_wait_loadcnt_dscnt 0x3
	v_mul_f64_e32 v[74:75], v[24:25], v[48:49]
	v_mul_f64_e32 v[44:45], v[18:19], v[44:45]
	;; [unrolled: 1-line block ×3, first 2 shown]
	v_fma_f64 v[6:7], v[6:7], v[30:31], -v[66:67]
	v_fma_f64 v[10:11], v[10:11], v[26:27], -v[64:65]
	v_fma_f64 v[12:13], v[26:27], v[12:13], v[28:29]
	v_fma_f64 v[8:9], v[30:31], v[8:9], v[32:33]
	v_mad_co_u64_u32 v[26:27], null, s16, v85, 0
	v_fma_f64 v[0:1], v[0:1], v[34:35], -v[68:69]
	v_fma_f64 v[14:15], v[14:15], v[38:39], -v[70:71]
	v_fma_f64 v[2:3], v[34:35], v[2:3], v[36:37]
	v_fma_f64 v[16:17], v[38:39], v[16:17], v[40:41]
	v_fma_f64 v[18:19], v[18:19], v[42:43], -v[72:73]
	v_fma_f64 v[22:23], v[22:23], v[46:47], -v[74:75]
	v_fma_f64 v[20:21], v[42:43], v[20:21], v[44:45]
	v_fma_f64 v[24:25], v[46:47], v[24:25], v[48:49]
	v_mad_u32_u24 v71, 0x5cd, v78, v76
	s_delay_alu instid0(VALU_DEP_1) | instskip(SKIP_2) | instid1(VALU_DEP_3)
	v_add_nc_u32_e32 v74, 0x3de, v71
	v_mad_co_u64_u32 v[30:31], null, s16, v71, 0
	v_add_nc_u32_e32 v73, 0x1ef, v71
	v_mad_co_u64_u32 v[38:39], null, s16, v74, 0
	v_add_nc_u32_e32 v77, 0x14a, v84
	s_wait_alu 0xfffd
	v_add_co_ci_u32_e32 v84, vcc_lo, s7, v5, vcc_lo
	v_mad_co_u64_u32 v[4:5], null, s16, v80, 0
	s_delay_alu instid0(VALU_DEP_3)
	v_mul_hi_u32 v79, 0x21195767, v77
	v_add_f64_e32 v[42:43], v[12:13], v[8:9]
	v_add_f64_e32 v[44:45], v[10:11], v[6:7]
	v_add_co_u32 v87, vcc_lo, v83, v62
	s_wait_alu 0xfffd
	v_add_co_ci_u32_e32 v88, vcc_lo, v84, v63, vcc_lo
	v_mad_co_u64_u32 v[34:35], null, s17, v80, v[5:6]
	v_lshrrev_b32_e32 v79, 6, v79
	v_mov_b32_e32 v5, v27
	v_mad_co_u64_u32 v[36:37], null, s16, v73, 0
	s_wait_dscnt 0x1
	v_add_f64_e32 v[75:76], v[12:13], v[56:57]
	v_mul_u32_u24_e32 v82, 0x1ef, v79
	v_mad_co_u64_u32 v[64:65], null, s17, v85, v[5:6]
	v_add_f64_e32 v[48:49], v[2:3], v[16:17]
	v_add_f64_e32 v[62:63], v[0:1], v[14:15]
	s_delay_alu instid0(VALU_DEP_4)
	v_sub_nc_u32_e32 v77, v77, v82
	v_add_f64_e32 v[65:66], v[20:21], v[24:25]
	v_add_f64_e32 v[67:68], v[18:19], v[22:23]
	v_mov_b32_e32 v5, v34
	v_add_f64_e32 v[81:82], v[20:21], v[52:53]
	v_mad_u32_u24 v72, 0x5cd, v79, v77
	v_add_f64_e64 v[77:78], v[12:13], -v[8:9]
	s_wait_dscnt 0x0
	v_add_f64_e32 v[12:13], v[2:3], v[60:61]
	v_add_f64_e32 v[83:84], v[18:19], v[50:51]
	v_lshlrev_b64_e32 v[4:5], 4, v[4:5]
	v_mad_co_u64_u32 v[32:33], null, s16, v72, 0
	v_add_nc_u32_e32 v86, 0x3de, v80
	v_add_nc_u32_e32 v89, 0x1ef, v72
	;; [unrolled: 1-line block ×3, first 2 shown]
	v_add_f64_e32 v[79:80], v[0:1], v[58:59]
	s_delay_alu instid0(VALU_DEP_4) | instskip(NEXT) | instid1(VALU_DEP_4)
	v_mad_co_u64_u32 v[28:29], null, s16, v86, 0
	v_mad_co_u64_u32 v[40:41], null, s16, v89, 0
	v_fma_f64 v[42:43], v[42:43], -0.5, v[56:57]
	v_fma_f64 v[44:45], v[44:45], -0.5, v[54:55]
	v_add_f64_e64 v[56:57], v[0:1], -v[14:15]
	v_mov_b32_e32 v27, v29
	v_mov_b32_e32 v29, v31
	;; [unrolled: 1-line block ×4, first 2 shown]
	v_mad_co_u64_u32 v[46:47], null, s16, v90, 0
	v_mad_co_u64_u32 v[69:70], null, s17, v86, v[27:28]
	v_mov_b32_e32 v27, v33
	v_mad_co_u64_u32 v[33:34], null, s17, v71, v[29:30]
	v_mov_b32_e32 v34, v39
	v_fma_f64 v[48:49], v[48:49], -0.5, v[60:61]
	s_delay_alu instid0(VALU_DEP_4) | instskip(SKIP_1) | instid1(VALU_DEP_4)
	v_mad_co_u64_u32 v[70:71], null, s17, v72, v[27:28]
	v_mad_co_u64_u32 v[71:72], null, s17, v73, v[31:32]
	;; [unrolled: 1-line block ×3, first 2 shown]
	v_add_f64_e64 v[73:74], v[10:11], -v[6:7]
	v_add_f64_e32 v[10:11], v[10:11], v[54:55]
	v_add_f64_e64 v[60:61], v[18:19], -v[22:23]
	v_fma_f64 v[58:59], v[62:63], -0.5, v[58:59]
	v_add_f64_e64 v[62:63], v[20:21], -v[24:25]
	v_fma_f64 v[52:53], v[65:66], -0.5, v[52:53]
	v_fma_f64 v[50:51], v[67:68], -0.5, v[50:51]
	v_add_f64_e64 v[54:55], v[2:3], -v[16:17]
	v_mov_b32_e32 v37, v47
	v_mov_b32_e32 v27, v64
	v_mad_co_u64_u32 v[0:1], null, s17, v89, v[35:36]
	v_add_co_u32 v66, vcc_lo, v87, v4
	s_delay_alu instid0(VALU_DEP_4) | instskip(NEXT) | instid1(VALU_DEP_4)
	v_mad_co_u64_u32 v[1:2], null, s17, v90, v[37:38]
	v_lshlrev_b64_e32 v[2:3], 4, v[26:27]
	s_wait_alu 0xfffd
	v_add_co_ci_u32_e32 v67, vcc_lo, v88, v5, vcc_lo
	v_mov_b32_e32 v31, v33
	v_mov_b32_e32 v33, v70
	;; [unrolled: 1-line block ×3, first 2 shown]
	v_add_co_u32 v85, vcc_lo, v87, v2
	v_mov_b32_e32 v41, v0
	v_mov_b32_e32 v47, v1
	s_wait_alu 0xfffd
	v_add_co_ci_u32_e32 v86, vcc_lo, v88, v3, vcc_lo
	v_add_f64_e32 v[2:3], v[8:9], v[75:76]
	v_add_f64_e32 v[4:5], v[14:15], v[79:80]
	;; [unrolled: 1-line block ×3, first 2 shown]
	v_mov_b32_e32 v37, v71
	v_lshlrev_b64_e32 v[70:71], 4, v[32:33]
	v_lshlrev_b64_e32 v[64:65], 4, v[28:29]
	;; [unrolled: 1-line block ×3, first 2 shown]
	v_fma_f64 v[26:27], v[56:57], s[4:5], v[48:49]
	v_fma_f64 v[22:23], v[56:57], s[0:1], v[48:49]
	v_mov_b32_e32 v39, v72
	v_fma_f64 v[18:19], v[73:74], s[4:5], v[42:43]
	v_add_f64_e32 v[0:1], v[6:7], v[10:11]
	v_add_f64_e32 v[6:7], v[16:17], v[12:13]
	v_fma_f64 v[16:17], v[77:78], s[0:1], v[44:45]
	v_fma_f64 v[14:15], v[73:74], s[0:1], v[42:43]
	;; [unrolled: 1-line block ×3, first 2 shown]
	v_add_f64_e32 v[10:11], v[24:25], v[81:82]
	v_fma_f64 v[34:35], v[60:61], s[4:5], v[52:53]
	v_fma_f64 v[32:33], v[62:63], s[0:1], v[50:51]
	;; [unrolled: 1-line block ×6, first 2 shown]
	v_add_co_u32 v42, vcc_lo, v87, v64
	s_wait_alu 0xfffd
	v_add_co_ci_u32_e32 v43, vcc_lo, v88, v65, vcc_lo
	v_lshlrev_b64_e32 v[36:37], 4, v[36:37]
	v_lshlrev_b64_e32 v[44:45], 4, v[46:47]
	v_add_co_u32 v46, vcc_lo, v87, v68
	s_wait_alu 0xfffd
	v_add_co_ci_u32_e32 v47, vcc_lo, v88, v69, vcc_lo
	v_lshlrev_b64_e32 v[38:39], 4, v[38:39]
	v_add_co_u32 v48, vcc_lo, v87, v70
	s_wait_alu 0xfffd
	v_add_co_ci_u32_e32 v49, vcc_lo, v88, v71, vcc_lo
	;; [unrolled: 4-line block ×3, first 2 shown]
	v_add_co_u32 v38, vcc_lo, v87, v38
	s_wait_alu 0xfffd
	v_add_co_ci_u32_e32 v39, vcc_lo, v88, v39, vcc_lo
	v_add_co_u32 v40, vcc_lo, v87, v40
	s_wait_alu 0xfffd
	v_add_co_ci_u32_e32 v41, vcc_lo, v88, v41, vcc_lo
	;; [unrolled: 3-line block ×3, first 2 shown]
	s_clause 0x8
	global_store_b128 v[66:67], v[0:3], off
	global_store_b128 v[85:86], v[16:19], off
	;; [unrolled: 1-line block ×9, first 2 shown]
.LBB0_23:
	s_nop 0
	s_sendmsg sendmsg(MSG_DEALLOC_VGPRS)
	s_endpgm
	.section	.rodata,"a",@progbits
	.p2align	6, 0x0
	.amdhsa_kernel fft_rtc_fwd_len1485_factors_3_5_11_3_3_wgs_165_tpt_165_dp_op_CI_CI_sbrr_dirReg
		.amdhsa_group_segment_fixed_size 0
		.amdhsa_private_segment_fixed_size 0
		.amdhsa_kernarg_size 104
		.amdhsa_user_sgpr_count 2
		.amdhsa_user_sgpr_dispatch_ptr 0
		.amdhsa_user_sgpr_queue_ptr 0
		.amdhsa_user_sgpr_kernarg_segment_ptr 1
		.amdhsa_user_sgpr_dispatch_id 0
		.amdhsa_user_sgpr_private_segment_size 0
		.amdhsa_wavefront_size32 1
		.amdhsa_uses_dynamic_stack 0
		.amdhsa_enable_private_segment 0
		.amdhsa_system_sgpr_workgroup_id_x 1
		.amdhsa_system_sgpr_workgroup_id_y 0
		.amdhsa_system_sgpr_workgroup_id_z 0
		.amdhsa_system_sgpr_workgroup_info 0
		.amdhsa_system_vgpr_workitem_id 0
		.amdhsa_next_free_vgpr 194
		.amdhsa_next_free_sgpr 43
		.amdhsa_reserve_vcc 1
		.amdhsa_float_round_mode_32 0
		.amdhsa_float_round_mode_16_64 0
		.amdhsa_float_denorm_mode_32 3
		.amdhsa_float_denorm_mode_16_64 3
		.amdhsa_fp16_overflow 0
		.amdhsa_workgroup_processor_mode 1
		.amdhsa_memory_ordered 1
		.amdhsa_forward_progress 0
		.amdhsa_round_robin_scheduling 0
		.amdhsa_exception_fp_ieee_invalid_op 0
		.amdhsa_exception_fp_denorm_src 0
		.amdhsa_exception_fp_ieee_div_zero 0
		.amdhsa_exception_fp_ieee_overflow 0
		.amdhsa_exception_fp_ieee_underflow 0
		.amdhsa_exception_fp_ieee_inexact 0
		.amdhsa_exception_int_div_zero 0
	.end_amdhsa_kernel
	.text
.Lfunc_end0:
	.size	fft_rtc_fwd_len1485_factors_3_5_11_3_3_wgs_165_tpt_165_dp_op_CI_CI_sbrr_dirReg, .Lfunc_end0-fft_rtc_fwd_len1485_factors_3_5_11_3_3_wgs_165_tpt_165_dp_op_CI_CI_sbrr_dirReg
                                        ; -- End function
	.section	.AMDGPU.csdata,"",@progbits
; Kernel info:
; codeLenInByte = 9168
; NumSgprs: 45
; NumVgprs: 194
; ScratchSize: 0
; MemoryBound: 1
; FloatMode: 240
; IeeeMode: 1
; LDSByteSize: 0 bytes/workgroup (compile time only)
; SGPRBlocks: 5
; VGPRBlocks: 24
; NumSGPRsForWavesPerEU: 45
; NumVGPRsForWavesPerEU: 194
; Occupancy: 7
; WaveLimiterHint : 1
; COMPUTE_PGM_RSRC2:SCRATCH_EN: 0
; COMPUTE_PGM_RSRC2:USER_SGPR: 2
; COMPUTE_PGM_RSRC2:TRAP_HANDLER: 0
; COMPUTE_PGM_RSRC2:TGID_X_EN: 1
; COMPUTE_PGM_RSRC2:TGID_Y_EN: 0
; COMPUTE_PGM_RSRC2:TGID_Z_EN: 0
; COMPUTE_PGM_RSRC2:TIDIG_COMP_CNT: 0
	.text
	.p2alignl 7, 3214868480
	.fill 96, 4, 3214868480
	.type	__hip_cuid_6d525a44a5aed896,@object ; @__hip_cuid_6d525a44a5aed896
	.section	.bss,"aw",@nobits
	.globl	__hip_cuid_6d525a44a5aed896
__hip_cuid_6d525a44a5aed896:
	.byte	0                               ; 0x0
	.size	__hip_cuid_6d525a44a5aed896, 1

	.ident	"AMD clang version 19.0.0git (https://github.com/RadeonOpenCompute/llvm-project roc-6.4.0 25133 c7fe45cf4b819c5991fe208aaa96edf142730f1d)"
	.section	".note.GNU-stack","",@progbits
	.addrsig
	.addrsig_sym __hip_cuid_6d525a44a5aed896
	.amdgpu_metadata
---
amdhsa.kernels:
  - .args:
      - .actual_access:  read_only
        .address_space:  global
        .offset:         0
        .size:           8
        .value_kind:     global_buffer
      - .offset:         8
        .size:           8
        .value_kind:     by_value
      - .actual_access:  read_only
        .address_space:  global
        .offset:         16
        .size:           8
        .value_kind:     global_buffer
      - .actual_access:  read_only
        .address_space:  global
        .offset:         24
        .size:           8
        .value_kind:     global_buffer
      - .actual_access:  read_only
        .address_space:  global
        .offset:         32
        .size:           8
        .value_kind:     global_buffer
      - .offset:         40
        .size:           8
        .value_kind:     by_value
      - .actual_access:  read_only
        .address_space:  global
        .offset:         48
        .size:           8
        .value_kind:     global_buffer
      - .actual_access:  read_only
        .address_space:  global
        .offset:         56
        .size:           8
        .value_kind:     global_buffer
      - .offset:         64
        .size:           4
        .value_kind:     by_value
      - .actual_access:  read_only
        .address_space:  global
        .offset:         72
        .size:           8
        .value_kind:     global_buffer
      - .actual_access:  read_only
        .address_space:  global
        .offset:         80
        .size:           8
        .value_kind:     global_buffer
      - .actual_access:  read_only
        .address_space:  global
        .offset:         88
        .size:           8
        .value_kind:     global_buffer
      - .actual_access:  write_only
        .address_space:  global
        .offset:         96
        .size:           8
        .value_kind:     global_buffer
    .group_segment_fixed_size: 0
    .kernarg_segment_align: 8
    .kernarg_segment_size: 104
    .language:       OpenCL C
    .language_version:
      - 2
      - 0
    .max_flat_workgroup_size: 165
    .name:           fft_rtc_fwd_len1485_factors_3_5_11_3_3_wgs_165_tpt_165_dp_op_CI_CI_sbrr_dirReg
    .private_segment_fixed_size: 0
    .sgpr_count:     45
    .sgpr_spill_count: 0
    .symbol:         fft_rtc_fwd_len1485_factors_3_5_11_3_3_wgs_165_tpt_165_dp_op_CI_CI_sbrr_dirReg.kd
    .uniform_work_group_size: 1
    .uses_dynamic_stack: false
    .vgpr_count:     194
    .vgpr_spill_count: 0
    .wavefront_size: 32
    .workgroup_processor_mode: 1
amdhsa.target:   amdgcn-amd-amdhsa--gfx1201
amdhsa.version:
  - 1
  - 2
...

	.end_amdgpu_metadata
